;; amdgpu-corpus repo=ROCm/rocFFT kind=compiled arch=gfx906 opt=O3
	.text
	.amdgcn_target "amdgcn-amd-amdhsa--gfx906"
	.amdhsa_code_object_version 6
	.protected	fft_rtc_back_len1088_factors_17_4_4_2_2_wgs_204_tpt_68_halfLds_sp_op_CI_CI_sbrr_dirReg ; -- Begin function fft_rtc_back_len1088_factors_17_4_4_2_2_wgs_204_tpt_68_halfLds_sp_op_CI_CI_sbrr_dirReg
	.globl	fft_rtc_back_len1088_factors_17_4_4_2_2_wgs_204_tpt_68_halfLds_sp_op_CI_CI_sbrr_dirReg
	.p2align	8
	.type	fft_rtc_back_len1088_factors_17_4_4_2_2_wgs_204_tpt_68_halfLds_sp_op_CI_CI_sbrr_dirReg,@function
fft_rtc_back_len1088_factors_17_4_4_2_2_wgs_204_tpt_68_halfLds_sp_op_CI_CI_sbrr_dirReg: ; @fft_rtc_back_len1088_factors_17_4_4_2_2_wgs_204_tpt_68_halfLds_sp_op_CI_CI_sbrr_dirReg
; %bb.0:
	s_load_dwordx4 s[16:19], s[4:5], 0x18
	s_load_dwordx4 s[12:15], s[4:5], 0x0
	;; [unrolled: 1-line block ×3, first 2 shown]
	v_mul_u32_u24_e32 v1, 0x3c4, v0
	v_lshrrev_b32_e32 v1, 16, v1
	v_mad_u64_u32 v[41:42], s[0:1], s6, 3, v[1:2]
	s_waitcnt lgkmcnt(0)
	s_load_dwordx2 s[22:23], s[16:17], 0x0
	s_load_dwordx2 s[20:21], s[18:19], 0x0
	v_mov_b32_e32 v3, 0
	v_cmp_lt_u64_e64 s[0:1], s[14:15], 2
	v_mov_b32_e32 v43, 0
	v_mov_b32_e32 v42, v3
	;; [unrolled: 1-line block ×5, first 2 shown]
	s_and_b64 vcc, exec, s[0:1]
	v_mov_b32_e32 v2, v44
	v_mov_b32_e32 v6, v42
	s_cbranch_vccnz .LBB0_8
; %bb.1:
	s_load_dwordx2 s[0:1], s[4:5], 0x10
	s_add_u32 s2, s18, 8
	s_addc_u32 s3, s19, 0
	s_add_u32 s6, s16, 8
	s_addc_u32 s7, s17, 0
	v_mov_b32_e32 v43, 0
	s_waitcnt lgkmcnt(0)
	s_add_u32 s24, s0, 8
	v_mov_b32_e32 v44, 0
	v_mov_b32_e32 v1, v43
	;; [unrolled: 1-line block ×3, first 2 shown]
	s_addc_u32 s25, s1, 0
	s_mov_b64 s[26:27], 1
	v_mov_b32_e32 v2, v44
	v_mov_b32_e32 v8, v42
.LBB0_2:                                ; =>This Inner Loop Header: Depth=1
	s_load_dwordx2 s[28:29], s[24:25], 0x0
                                        ; implicit-def: $vgpr5_vgpr6
	s_waitcnt lgkmcnt(0)
	v_or_b32_e32 v4, s29, v8
	v_cmp_ne_u64_e32 vcc, 0, v[3:4]
	s_and_saveexec_b64 s[0:1], vcc
	s_xor_b64 s[30:31], exec, s[0:1]
	s_cbranch_execz .LBB0_4
; %bb.3:                                ;   in Loop: Header=BB0_2 Depth=1
	v_cvt_f32_u32_e32 v4, s28
	v_cvt_f32_u32_e32 v5, s29
	s_sub_u32 s0, 0, s28
	s_subb_u32 s1, 0, s29
	v_mac_f32_e32 v4, 0x4f800000, v5
	v_rcp_f32_e32 v4, v4
	v_mul_f32_e32 v4, 0x5f7ffffc, v4
	v_mul_f32_e32 v5, 0x2f800000, v4
	v_trunc_f32_e32 v5, v5
	v_mac_f32_e32 v4, 0xcf800000, v5
	v_cvt_u32_f32_e32 v5, v5
	v_cvt_u32_f32_e32 v4, v4
	v_mul_lo_u32 v6, s0, v5
	v_mul_hi_u32 v9, s0, v4
	v_mul_lo_u32 v11, s1, v4
	v_mul_lo_u32 v10, s0, v4
	v_add_u32_e32 v6, v9, v6
	v_add_u32_e32 v6, v6, v11
	v_mul_hi_u32 v9, v4, v10
	v_mul_lo_u32 v11, v4, v6
	v_mul_hi_u32 v13, v4, v6
	v_mul_hi_u32 v12, v5, v10
	v_mul_lo_u32 v10, v5, v10
	v_mul_hi_u32 v14, v5, v6
	v_add_co_u32_e32 v9, vcc, v9, v11
	v_addc_co_u32_e32 v11, vcc, 0, v13, vcc
	v_mul_lo_u32 v6, v5, v6
	v_add_co_u32_e32 v9, vcc, v9, v10
	v_addc_co_u32_e32 v9, vcc, v11, v12, vcc
	v_addc_co_u32_e32 v10, vcc, 0, v14, vcc
	v_add_co_u32_e32 v6, vcc, v9, v6
	v_addc_co_u32_e32 v9, vcc, 0, v10, vcc
	v_add_co_u32_e32 v4, vcc, v4, v6
	v_addc_co_u32_e32 v5, vcc, v5, v9, vcc
	v_mul_lo_u32 v6, s0, v5
	v_mul_hi_u32 v9, s0, v4
	v_mul_lo_u32 v10, s1, v4
	v_mul_lo_u32 v11, s0, v4
	v_add_u32_e32 v6, v9, v6
	v_add_u32_e32 v6, v6, v10
	v_mul_lo_u32 v12, v4, v6
	v_mul_hi_u32 v13, v4, v11
	v_mul_hi_u32 v14, v4, v6
	;; [unrolled: 1-line block ×3, first 2 shown]
	v_mul_lo_u32 v11, v5, v11
	v_mul_hi_u32 v9, v5, v6
	v_add_co_u32_e32 v12, vcc, v13, v12
	v_addc_co_u32_e32 v13, vcc, 0, v14, vcc
	v_mul_lo_u32 v6, v5, v6
	v_add_co_u32_e32 v11, vcc, v12, v11
	v_addc_co_u32_e32 v10, vcc, v13, v10, vcc
	v_addc_co_u32_e32 v9, vcc, 0, v9, vcc
	v_add_co_u32_e32 v6, vcc, v10, v6
	v_addc_co_u32_e32 v9, vcc, 0, v9, vcc
	v_add_co_u32_e32 v6, vcc, v4, v6
	v_addc_co_u32_e32 v9, vcc, v5, v9, vcc
	v_mad_u64_u32 v[4:5], s[0:1], v7, v9, 0
	v_mul_hi_u32 v10, v7, v6
	v_add_co_u32_e32 v11, vcc, v10, v4
	v_addc_co_u32_e32 v12, vcc, 0, v5, vcc
	v_mad_u64_u32 v[4:5], s[0:1], v8, v6, 0
	v_mad_u64_u32 v[9:10], s[0:1], v8, v9, 0
	v_add_co_u32_e32 v4, vcc, v11, v4
	v_addc_co_u32_e32 v4, vcc, v12, v5, vcc
	v_addc_co_u32_e32 v5, vcc, 0, v10, vcc
	v_add_co_u32_e32 v9, vcc, v4, v9
	v_addc_co_u32_e32 v6, vcc, 0, v5, vcc
	v_mul_lo_u32 v10, s29, v9
	v_mul_lo_u32 v11, s28, v6
	v_mad_u64_u32 v[4:5], s[0:1], s28, v9, 0
	v_add3_u32 v5, v5, v11, v10
	v_sub_u32_e32 v10, v8, v5
	v_mov_b32_e32 v11, s29
	v_sub_co_u32_e32 v4, vcc, v7, v4
	v_subb_co_u32_e64 v10, s[0:1], v10, v11, vcc
	v_subrev_co_u32_e64 v11, s[0:1], s28, v4
	v_subbrev_co_u32_e64 v10, s[0:1], 0, v10, s[0:1]
	v_cmp_le_u32_e64 s[0:1], s29, v10
	v_cndmask_b32_e64 v12, 0, -1, s[0:1]
	v_cmp_le_u32_e64 s[0:1], s28, v11
	v_cndmask_b32_e64 v11, 0, -1, s[0:1]
	v_cmp_eq_u32_e64 s[0:1], s29, v10
	v_cndmask_b32_e64 v10, v12, v11, s[0:1]
	v_add_co_u32_e64 v11, s[0:1], 2, v9
	v_addc_co_u32_e64 v12, s[0:1], 0, v6, s[0:1]
	v_add_co_u32_e64 v13, s[0:1], 1, v9
	v_addc_co_u32_e64 v14, s[0:1], 0, v6, s[0:1]
	v_subb_co_u32_e32 v5, vcc, v8, v5, vcc
	v_cmp_ne_u32_e64 s[0:1], 0, v10
	v_cmp_le_u32_e32 vcc, s29, v5
	v_cndmask_b32_e64 v10, v14, v12, s[0:1]
	v_cndmask_b32_e64 v12, 0, -1, vcc
	v_cmp_le_u32_e32 vcc, s28, v4
	v_cndmask_b32_e64 v4, 0, -1, vcc
	v_cmp_eq_u32_e32 vcc, s29, v5
	v_cndmask_b32_e32 v4, v12, v4, vcc
	v_cmp_ne_u32_e32 vcc, 0, v4
	v_cndmask_b32_e64 v4, v13, v11, s[0:1]
	v_cndmask_b32_e32 v6, v6, v10, vcc
	v_cndmask_b32_e32 v5, v9, v4, vcc
.LBB0_4:                                ;   in Loop: Header=BB0_2 Depth=1
	s_andn2_saveexec_b64 s[0:1], s[30:31]
	s_cbranch_execz .LBB0_6
; %bb.5:                                ;   in Loop: Header=BB0_2 Depth=1
	v_cvt_f32_u32_e32 v4, s28
	s_sub_i32 s30, 0, s28
	v_rcp_iflag_f32_e32 v4, v4
	v_mul_f32_e32 v4, 0x4f7ffffe, v4
	v_cvt_u32_f32_e32 v4, v4
	v_mul_lo_u32 v5, s30, v4
	v_mul_hi_u32 v5, v4, v5
	v_add_u32_e32 v4, v4, v5
	v_mul_hi_u32 v4, v7, v4
	v_mul_lo_u32 v5, v4, s28
	v_add_u32_e32 v6, 1, v4
	v_sub_u32_e32 v5, v7, v5
	v_subrev_u32_e32 v9, s28, v5
	v_cmp_le_u32_e32 vcc, s28, v5
	v_cndmask_b32_e32 v5, v5, v9, vcc
	v_cndmask_b32_e32 v4, v4, v6, vcc
	v_add_u32_e32 v6, 1, v4
	v_cmp_le_u32_e32 vcc, s28, v5
	v_cndmask_b32_e32 v5, v4, v6, vcc
	v_mov_b32_e32 v6, v3
.LBB0_6:                                ;   in Loop: Header=BB0_2 Depth=1
	s_or_b64 exec, exec, s[0:1]
	v_mul_lo_u32 v4, v6, s28
	v_mul_lo_u32 v11, v5, s29
	v_mad_u64_u32 v[9:10], s[0:1], v5, s28, 0
	s_load_dwordx2 s[0:1], s[6:7], 0x0
	s_load_dwordx2 s[28:29], s[2:3], 0x0
	v_add3_u32 v4, v10, v11, v4
	v_sub_co_u32_e32 v7, vcc, v7, v9
	v_subb_co_u32_e32 v4, vcc, v8, v4, vcc
	s_waitcnt lgkmcnt(0)
	v_mul_lo_u32 v8, s0, v4
	v_mul_lo_u32 v9, s1, v7
	v_mad_u64_u32 v[43:44], s[0:1], s0, v7, v[43:44]
	s_add_u32 s26, s26, 1
	s_addc_u32 s27, s27, 0
	s_add_u32 s2, s2, 8
	v_mul_lo_u32 v4, s28, v4
	v_mul_lo_u32 v10, s29, v7
	v_mad_u64_u32 v[1:2], s[0:1], s28, v7, v[1:2]
	v_add3_u32 v44, v9, v44, v8
	s_addc_u32 s3, s3, 0
	v_mov_b32_e32 v7, s14
	s_add_u32 s6, s6, 8
	v_mov_b32_e32 v8, s15
	s_addc_u32 s7, s7, 0
	v_cmp_ge_u64_e32 vcc, s[26:27], v[7:8]
	s_add_u32 s24, s24, 8
	v_add3_u32 v2, v10, v2, v4
	s_addc_u32 s25, s25, 0
	s_cbranch_vccnz .LBB0_8
; %bb.7:                                ;   in Loop: Header=BB0_2 Depth=1
	v_mov_b32_e32 v8, v6
	v_mov_b32_e32 v7, v5
	s_branch .LBB0_2
.LBB0_8:
	s_load_dwordx2 s[0:1], s[4:5], 0x28
	s_mov_b32 s4, 0x3c3c3c4
	v_mul_hi_u32 v3, v0, s4
	s_lshl_b64 s[2:3], s[14:15], 3
	s_add_u32 s4, s18, s2
	s_waitcnt lgkmcnt(0)
	v_cmp_gt_u64_e32 vcc, s[0:1], v[5:6]
	v_mul_u32_u24_e32 v3, 0x44, v3
	v_sub_u32_e32 v3, v0, v3
	v_cmp_gt_u32_e64 s[0:1], 64, v3
	s_addc_u32 s5, s19, s3
	s_and_b64 s[14:15], vcc, s[0:1]
	v_mov_b32_e32 v32, 0
	v_mov_b32_e32 v31, 0
                                        ; implicit-def: $vgpr38
                                        ; implicit-def: $vgpr34
                                        ; implicit-def: $vgpr28
                                        ; implicit-def: $vgpr24
                                        ; implicit-def: $vgpr20
                                        ; implicit-def: $vgpr16
                                        ; implicit-def: $vgpr12
                                        ; implicit-def: $vgpr8
                                        ; implicit-def: $vgpr10
                                        ; implicit-def: $vgpr14
                                        ; implicit-def: $vgpr22
                                        ; implicit-def: $vgpr26
                                        ; implicit-def: $vgpr30
                                        ; implicit-def: $vgpr40
                                        ; implicit-def: $vgpr36
                                        ; implicit-def: $vgpr18
	s_and_saveexec_b64 s[6:7], s[14:15]
	s_cbranch_execz .LBB0_10
; %bb.9:
	s_add_u32 s2, s16, s2
	s_addc_u32 s3, s17, s3
	s_load_dwordx2 s[2:3], s[2:3], 0x0
	v_mad_u64_u32 v[7:8], s[14:15], s22, v3, 0
	v_mov_b32_e32 v0, v8
	s_waitcnt lgkmcnt(0)
	v_mul_lo_u32 v4, s3, v5
	v_mul_lo_u32 v13, s2, v6
	v_mad_u64_u32 v[9:10], s[2:3], s2, v5, 0
	v_mad_u64_u32 v[11:12], s[2:3], s23, v3, v[0:1]
	v_add3_u32 v10, v10, v13, v4
	v_lshlrev_b64 v[9:10], 3, v[9:10]
	v_mov_b32_e32 v0, s9
	v_add_co_u32_e64 v4, s[2:3], s8, v9
	v_or_b32_e32 v13, 64, v3
	v_mov_b32_e32 v8, v11
	v_addc_co_u32_e64 v0, s[2:3], v0, v10, s[2:3]
	v_mad_u64_u32 v[11:12], s[2:3], s22, v13, 0
	v_lshlrev_b64 v[9:10], 3, v[43:44]
	v_lshlrev_b64 v[7:8], 3, v[7:8]
	v_add_co_u32_e64 v4, s[2:3], v4, v9
	v_addc_co_u32_e64 v15, s[2:3], v0, v10, s[2:3]
	v_mov_b32_e32 v0, v12
	v_mad_u64_u32 v[9:10], s[2:3], s23, v13, v[0:1]
	v_or_b32_e32 v10, 0x80, v3
	v_mad_u64_u32 v[13:14], s[2:3], s22, v10, 0
	v_add_co_u32_e64 v35, s[2:3], v4, v7
	v_mov_b32_e32 v12, v9
	v_mov_b32_e32 v0, v14
	v_addc_co_u32_e64 v36, s[2:3], v15, v8, s[2:3]
	v_lshlrev_b64 v[7:8], 3, v[11:12]
	v_mad_u64_u32 v[9:10], s[2:3], s23, v10, v[0:1]
	v_or_b32_e32 v12, 0xc0, v3
	v_mad_u64_u32 v[10:11], s[2:3], s22, v12, 0
	v_add_co_u32_e64 v39, s[2:3], v4, v7
	v_mov_b32_e32 v0, v11
	v_addc_co_u32_e64 v40, s[2:3], v15, v8, s[2:3]
	v_mov_b32_e32 v14, v9
	v_mad_u64_u32 v[11:12], s[2:3], s23, v12, v[0:1]
	v_or_b32_e32 v9, 0x100, v3
	v_lshlrev_b64 v[7:8], 3, v[13:14]
	v_mad_u64_u32 v[12:13], s[2:3], s22, v9, 0
	v_add_co_u32_e64 v42, s[2:3], v4, v7
	v_mov_b32_e32 v0, v13
	v_addc_co_u32_e64 v43, s[2:3], v15, v8, s[2:3]
	v_lshlrev_b64 v[7:8], 3, v[10:11]
	v_mad_u64_u32 v[9:10], s[2:3], s23, v9, v[0:1]
	v_or_b32_e32 v14, 0x140, v3
	v_mad_u64_u32 v[10:11], s[2:3], s22, v14, 0
	v_add_co_u32_e64 v44, s[2:3], v4, v7
	v_mov_b32_e32 v13, v9
	v_mov_b32_e32 v0, v11
	v_addc_co_u32_e64 v45, s[2:3], v15, v8, s[2:3]
	v_lshlrev_b64 v[7:8], 3, v[12:13]
	v_mad_u64_u32 v[11:12], s[2:3], s23, v14, v[0:1]
	v_or_b32_e32 v9, 0x180, v3
	v_mad_u64_u32 v[12:13], s[2:3], s22, v9, 0
	v_add_co_u32_e64 v46, s[2:3], v4, v7
	v_mov_b32_e32 v0, v13
	v_addc_co_u32_e64 v47, s[2:3], v15, v8, s[2:3]
	v_lshlrev_b64 v[7:8], 3, v[10:11]
	v_mad_u64_u32 v[9:10], s[2:3], s23, v9, v[0:1]
	v_or_b32_e32 v14, 0x1c0, v3
	v_mad_u64_u32 v[10:11], s[2:3], s22, v14, 0
	v_add_co_u32_e64 v48, s[2:3], v4, v7
	v_mov_b32_e32 v13, v9
	v_mov_b32_e32 v0, v11
	v_addc_co_u32_e64 v49, s[2:3], v15, v8, s[2:3]
	v_lshlrev_b64 v[7:8], 3, v[12:13]
	v_mad_u64_u32 v[11:12], s[2:3], s23, v14, v[0:1]
	v_or_b32_e32 v9, 0x200, v3
	;; [unrolled: 15-line block ×6, first 2 shown]
	v_mad_u64_u32 v[12:13], s[2:3], s22, v9, 0
	v_add_co_u32_e64 v66, s[2:3], v4, v7
	v_mov_b32_e32 v0, v13
	v_addc_co_u32_e64 v67, s[2:3], v15, v8, s[2:3]
	v_lshlrev_b64 v[7:8], 3, v[10:11]
	v_mad_u64_u32 v[9:10], s[2:3], s23, v9, v[0:1]
	v_add_co_u32_e64 v68, s[2:3], v4, v7
	v_mov_b32_e32 v13, v9
	v_addc_co_u32_e64 v69, s[2:3], v15, v8, s[2:3]
	v_lshlrev_b64 v[7:8], 3, v[12:13]
	v_add_co_u32_e64 v70, s[2:3], v4, v7
	v_addc_co_u32_e64 v71, s[2:3], v15, v8, s[2:3]
	global_load_dwordx2 v[31:32], v[35:36], off
	global_load_dwordx2 v[37:38], v[39:40], off
	;; [unrolled: 1-line block ×15, first 2 shown]
                                        ; kill: killed $vgpr60 killed $vgpr61
                                        ; kill: killed $vgpr50 killed $vgpr51
                                        ; kill: killed $vgpr39 killed $vgpr40
                                        ; kill: killed $vgpr64 killed $vgpr65
                                        ; kill: killed $vgpr54 killed $vgpr55
                                        ; kill: killed $vgpr44 killed $vgpr45
                                        ; kill: killed $vgpr58 killed $vgpr59
                                        ; kill: killed $vgpr48 killed $vgpr49
                                        ; kill: killed $vgpr35 killed $vgpr36
                                        ; kill: killed $vgpr62 killed $vgpr63
                                        ; kill: killed $vgpr52 killed $vgpr53
                                        ; kill: killed $vgpr42 killed $vgpr43
                                        ; kill: killed $vgpr66 killed $vgpr67
                                        ; kill: killed $vgpr56 killed $vgpr57
                                        ; kill: killed $vgpr46 killed $vgpr47
	global_load_dwordx2 v[35:36], v[68:69], off
	global_load_dwordx2 v[39:40], v[70:71], off
.LBB0_10:
	s_or_b64 exec, exec, s[6:7]
	s_mov_b32 s2, 0xaaaaaaab
	v_mul_hi_u32 v0, v41, s2
	v_lshrrev_b32_e32 v0, 1, v0
	v_lshl_add_u32 v0, v0, 1, v0
	v_sub_u32_e32 v0, v41, v0
	v_mul_u32_u24_e32 v0, 0x440, v0
	v_lshlrev_b32_e32 v0, 2, v0
	s_and_saveexec_b64 s[2:3], s[0:1]
	s_cbranch_execz .LBB0_12
; %bb.11:
	s_waitcnt vmcnt(0)
	v_add_f32_e32 v62, v37, v39
	v_mul_f32_e32 v41, 0xbf7ba420, v62
	v_add_f32_e32 v63, v33, v35
	v_sub_f32_e32 v54, v38, v40
	v_mov_b32_e32 v4, v41
	v_mul_f32_e32 v42, 0x3f6eb680, v63
	v_fmac_f32_e32 v4, 0x3e3c28d5, v54
	v_sub_f32_e32 v57, v34, v36
	v_mov_b32_e32 v43, v42
	v_add_f32_e32 v4, v31, v4
	v_fmac_f32_e32 v43, 0xbeb8f4ab, v57
	v_add_f32_e32 v64, v27, v29
	v_add_f32_e32 v4, v4, v43
	v_mul_f32_e32 v43, 0xbf59a7d5, v64
	v_sub_f32_e32 v59, v28, v30
	v_mov_b32_e32 v44, v43
	v_fmac_f32_e32 v44, 0x3f06c442, v59
	v_add_f32_e32 v65, v23, v25
	v_add_f32_e32 v4, v44, v4
	v_mul_f32_e32 v44, 0x3f3d2fb0, v65
	v_sub_f32_e32 v60, v24, v26
	v_mov_b32_e32 v45, v44
	;; [unrolled: 6-line block ×3, first 2 shown]
	v_fmac_f32_e32 v46, 0x3f4c4adb, v61
	v_add_f32_e32 v67, v15, v17
	v_add_f32_e32 v4, v46, v4
	v_mul_f32_e32 v46, 0x3ee437d1, v67
	v_fmac_f32_e32 v41, 0xbe3c28d5, v54
	v_sub_f32_e32 v58, v16, v18
	v_mov_b32_e32 v47, v46
	v_add_f32_e32 v41, v31, v41
	v_fmac_f32_e32 v42, 0x3eb8f4ab, v57
	v_fmac_f32_e32 v47, 0xbf65296c, v58
	v_add_f32_e32 v68, v11, v13
	v_add_f32_e32 v41, v41, v42
	v_fmac_f32_e32 v43, 0xbf06c442, v59
	v_add_f32_e32 v4, v47, v4
	v_mul_f32_e32 v47, 0xbe8c1d8e, v68
	v_add_f32_e32 v41, v43, v41
	v_fmac_f32_e32 v44, 0x3f2c7751, v60
	v_sub_f32_e32 v56, v12, v14
	v_mov_b32_e32 v48, v47
	v_add_f32_e32 v41, v44, v41
	v_fmac_f32_e32 v45, 0xbf4c4adb, v61
	v_fmac_f32_e32 v48, 0x3f763a35, v56
	v_add_f32_e32 v69, v7, v9
	v_add_f32_e32 v41, v45, v41
	v_fmac_f32_e32 v46, 0x3f65296c, v58
	v_add_f32_e32 v4, v48, v4
	v_mul_f32_e32 v48, 0x3dbcf732, v69
	v_sub_f32_e32 v55, v8, v10
	v_add_f32_e32 v41, v46, v41
	v_fmac_f32_e32 v47, 0xbf763a35, v56
	v_mov_b32_e32 v49, v48
	v_add_f32_e32 v41, v47, v41
	v_fmac_f32_e32 v48, 0x3f7ee86f, v55
	v_mul_f32_e32 v43, 0xbf59a7d5, v62
	v_add_f32_e32 v42, v48, v41
	v_mov_b32_e32 v41, v43
	v_mul_f32_e32 v44, 0x3ee437d1, v63
	v_fmac_f32_e32 v41, 0x3f06c442, v54
	v_mov_b32_e32 v45, v44
	v_add_f32_e32 v41, v31, v41
	v_fmac_f32_e32 v45, 0xbf65296c, v57
	v_add_f32_e32 v41, v41, v45
	v_mul_f32_e32 v45, 0x3dbcf732, v64
	v_mov_b32_e32 v46, v45
	v_fmac_f32_e32 v46, 0x3f7ee86f, v59
	v_add_f32_e32 v41, v46, v41
	v_mul_f32_e32 v46, 0xbf1a4643, v65
	v_mov_b32_e32 v47, v46
	;; [unrolled: 4-line block ×3, first 2 shown]
	v_fmac_f32_e32 v48, 0x3eb8f4ab, v61
	v_fmac_f32_e32 v49, 0xbf7ee86f, v55
	v_add_f32_e32 v41, v48, v41
	v_mul_f32_e32 v48, 0xbf7ba420, v67
	v_fmac_f32_e32 v43, 0xbf06c442, v54
	v_add_f32_e32 v4, v49, v4
	v_mov_b32_e32 v49, v48
	v_add_f32_e32 v43, v31, v43
	v_fmac_f32_e32 v44, 0x3f65296c, v57
	v_fmac_f32_e32 v49, 0x3e3c28d5, v58
	v_add_f32_e32 v43, v43, v44
	v_fmac_f32_e32 v45, 0xbf7ee86f, v59
	v_add_f32_e32 v41, v49, v41
	v_mul_f32_e32 v49, 0x3f3d2fb0, v68
	v_add_f32_e32 v43, v45, v43
	v_fmac_f32_e32 v46, 0x3f4c4adb, v60
	v_mov_b32_e32 v50, v49
	v_add_f32_e32 v43, v46, v43
	v_fmac_f32_e32 v47, 0xbeb8f4ab, v61
	v_fmac_f32_e32 v50, 0xbf2c7751, v56
	v_add_f32_e32 v43, v47, v43
	v_fmac_f32_e32 v48, 0xbe3c28d5, v58
	v_add_f32_e32 v41, v50, v41
	v_mul_f32_e32 v50, 0xbe8c1d8e, v69
	v_add_f32_e32 v43, v48, v43
	v_fmac_f32_e32 v49, 0x3f2c7751, v56
	v_mov_b32_e32 v51, v50
	v_add_f32_e32 v43, v49, v43
	v_fmac_f32_e32 v50, 0xbf763a35, v55
	v_add_f32_e32 v46, v50, v43
	v_mul_f32_e32 v43, 0xbf1a4643, v62
	v_mov_b32_e32 v44, v43
	v_mul_f32_e32 v45, 0xbe8c1d8e, v63
	v_fmac_f32_e32 v44, 0x3f4c4adb, v54
	v_mov_b32_e32 v47, v45
	v_add_f32_e32 v44, v31, v44
	v_fmac_f32_e32 v47, 0xbf763a35, v57
	v_add_f32_e32 v44, v44, v47
	v_mul_f32_e32 v47, 0x3f6eb680, v64
	v_mov_b32_e32 v48, v47
	v_fmac_f32_e32 v48, 0x3eb8f4ab, v59
	v_add_f32_e32 v44, v48, v44
	v_mul_f32_e32 v48, 0xbf59a7d5, v65
	v_mov_b32_e32 v49, v48
	v_fmac_f32_e32 v49, 0x3f06c442, v60
	v_add_f32_e32 v44, v49, v44
	v_mul_f32_e32 v49, 0x3dbcf732, v66
	v_mov_b32_e32 v50, v49
	v_fmac_f32_e32 v50, 0xbf7ee86f, v61
	v_fmac_f32_e32 v51, 0x3f763a35, v55
	v_add_f32_e32 v44, v50, v44
	v_mul_f32_e32 v50, 0x3f3d2fb0, v67
	v_fmac_f32_e32 v43, 0xbf4c4adb, v54
	v_add_f32_e32 v41, v51, v41
	v_mov_b32_e32 v51, v50
	v_add_f32_e32 v43, v31, v43
	v_fmac_f32_e32 v45, 0x3f763a35, v57
	v_fmac_f32_e32 v51, 0x3f2c7751, v58
	v_add_f32_e32 v43, v43, v45
	v_fmac_f32_e32 v47, 0xbeb8f4ab, v59
	v_add_f32_e32 v44, v51, v44
	v_mul_f32_e32 v51, 0xbf7ba420, v68
	v_add_f32_e32 v43, v47, v43
	v_fmac_f32_e32 v48, 0xbf06c442, v60
	v_mov_b32_e32 v52, v51
	v_add_f32_e32 v43, v48, v43
	v_fmac_f32_e32 v49, 0x3f7ee86f, v61
	v_fmac_f32_e32 v52, 0x3e3c28d5, v56
	v_add_f32_e32 v43, v49, v43
	v_fmac_f32_e32 v50, 0xbf2c7751, v58
	v_add_f32_e32 v44, v52, v44
	v_mul_f32_e32 v52, 0x3ee437d1, v69
	v_add_f32_e32 v43, v50, v43
	v_fmac_f32_e32 v51, 0xbe3c28d5, v56
	v_mov_b32_e32 v53, v52
	v_add_f32_e32 v43, v51, v43
	v_fmac_f32_e32 v52, 0x3f65296c, v55
	v_mul_f32_e32 v45, 0xbe8c1d8e, v62
	v_add_f32_e32 v48, v52, v43
	v_mov_b32_e32 v43, v45
	v_mul_f32_e32 v47, 0xbf59a7d5, v63
	v_fmac_f32_e32 v43, 0x3f763a35, v54
	v_mov_b32_e32 v49, v47
	v_add_f32_e32 v43, v31, v43
	v_fmac_f32_e32 v49, 0xbf06c442, v57
	v_add_f32_e32 v43, v43, v49
	v_mul_f32_e32 v49, 0x3f3d2fb0, v64
	v_mov_b32_e32 v50, v49
	v_fmac_f32_e32 v50, 0xbf2c7751, v59
	v_add_f32_e32 v43, v50, v43
	v_mul_f32_e32 v50, 0x3ee437d1, v65
	v_mov_b32_e32 v51, v50
	v_fmac_f32_e32 v51, 0x3f65296c, v60
	v_add_f32_e32 v43, v51, v43
	v_mul_f32_e32 v51, 0xbf7ba420, v66
	v_mov_b32_e32 v52, v51
	v_fmac_f32_e32 v52, 0x3e3c28d5, v61
	v_fmac_f32_e32 v53, 0xbf65296c, v55
	v_add_f32_e32 v43, v52, v43
	v_mul_f32_e32 v52, 0x3dbcf732, v67
	v_fmac_f32_e32 v45, 0xbf763a35, v54
	v_add_f32_e32 v44, v53, v44
	v_mov_b32_e32 v53, v52
	v_add_f32_e32 v45, v31, v45
	v_fmac_f32_e32 v47, 0x3f06c442, v57
	v_fmac_f32_e32 v53, 0xbf7ee86f, v58
	v_add_f32_e32 v45, v45, v47
	v_fmac_f32_e32 v49, 0x3f2c7751, v59
	v_add_f32_e32 v43, v53, v43
	v_mul_f32_e32 v53, 0x3f6eb680, v68
	v_add_f32_e32 v45, v49, v45
	v_fmac_f32_e32 v50, 0xbf65296c, v60
	v_mov_b32_e32 v70, v53
	v_add_f32_e32 v45, v50, v45
	v_fmac_f32_e32 v51, 0xbe3c28d5, v61
	v_fmac_f32_e32 v70, 0x3eb8f4ab, v56
	v_add_f32_e32 v45, v51, v45
	v_fmac_f32_e32 v52, 0x3f7ee86f, v58
	v_add_f32_e32 v43, v70, v43
	v_mul_f32_e32 v70, 0xbf1a4643, v69
	v_add_f32_e32 v45, v52, v45
	v_fmac_f32_e32 v53, 0xbeb8f4ab, v56
	v_mov_b32_e32 v71, v70
	v_add_f32_e32 v45, v53, v45
	v_fmac_f32_e32 v70, 0xbf4c4adb, v55
	v_mul_f32_e32 v47, 0x3dbcf732, v62
	v_add_f32_e32 v50, v70, v45
	;; [unrolled: 48-line block ×4, first 2 shown]
	v_mov_b32_e32 v49, v53
	v_mul_f32_e32 v70, 0x3dbcf732, v63
	v_fmac_f32_e32 v53, 0xbf2c7751, v54
	v_fmac_f32_e32 v49, 0x3f2c7751, v54
	v_mov_b32_e32 v71, v70
	v_add_f32_e32 v53, v31, v53
	v_fmac_f32_e32 v70, 0xbf7ee86f, v57
	v_add_f32_e32 v49, v31, v49
	v_fmac_f32_e32 v71, 0x3f7ee86f, v57
	v_add_f32_e32 v53, v53, v70
	v_mul_f32_e32 v70, 0x3f6eb680, v62
	v_add_f32_e32 v49, v49, v71
	v_mul_f32_e32 v71, 0xbf1a4643, v64
	v_mov_b32_e32 v62, v70
	v_mov_b32_e32 v72, v71
	v_fmac_f32_e32 v62, 0x3eb8f4ab, v54
	v_fmac_f32_e32 v70, 0xbeb8f4ab, v54
	;; [unrolled: 1-line block ×3, first 2 shown]
	v_add_f32_e32 v62, v31, v62
	v_add_f32_e32 v54, v31, v70
	;; [unrolled: 1-line block ×4, first 2 shown]
	v_mul_f32_e32 v72, 0xbf7ba420, v65
	v_fmac_f32_e32 v71, 0xbf4c4adb, v59
	v_mul_f32_e32 v63, 0x3f3d2fb0, v63
	v_add_f32_e32 v31, v31, v33
	v_mov_b32_e32 v73, v72
	v_add_f32_e32 v53, v71, v53
	v_mov_b32_e32 v71, v63
	v_add_f32_e32 v31, v31, v27
	v_fmac_f32_e32 v73, 0x3e3c28d5, v60
	v_fmac_f32_e32 v71, 0x3f2c7751, v57
	v_mul_f32_e32 v64, 0x3ee437d1, v64
	v_add_f32_e32 v31, v31, v23
	v_add_f32_e32 v49, v73, v49
	v_mul_f32_e32 v73, 0xbf59a7d5, v66
	v_add_f32_e32 v62, v62, v71
	v_mov_b32_e32 v71, v64
	v_add_f32_e32 v31, v31, v19
	v_mov_b32_e32 v74, v73
	v_fmac_f32_e32 v71, 0x3f65296c, v59
	v_mul_f32_e32 v65, 0x3dbcf732, v65
	v_add_f32_e32 v31, v31, v15
	v_fmac_f32_e32 v74, 0xbf06c442, v61
	v_add_f32_e32 v62, v71, v62
	v_mov_b32_e32 v71, v65
	v_add_f32_e32 v31, v31, v11
	v_fmac_f32_e32 v75, 0x3f06c442, v55
	v_add_f32_e32 v49, v74, v49
	v_mul_f32_e32 v74, 0xbe8c1d8e, v67
	v_fmac_f32_e32 v71, 0x3f7ee86f, v60
	v_mul_f32_e32 v66, 0xbe8c1d8e, v66
	v_add_f32_e32 v31, v31, v7
	v_add_f32_e32 v47, v75, v47
	v_mov_b32_e32 v75, v74
	v_add_f32_e32 v62, v71, v62
	v_mov_b32_e32 v71, v66
	v_add_f32_e32 v31, v31, v9
	v_fmac_f32_e32 v75, 0xbf763a35, v58
	v_fmac_f32_e32 v71, 0x3f763a35, v61
	v_mul_f32_e32 v67, 0xbf1a4643, v67
	v_fmac_f32_e32 v63, 0xbf2c7751, v57
	v_add_f32_e32 v31, v31, v13
	v_add_f32_e32 v49, v75, v49
	v_mul_f32_e32 v75, 0x3ee437d1, v68
	v_add_f32_e32 v62, v71, v62
	v_mov_b32_e32 v71, v67
	v_add_f32_e32 v54, v54, v63
	v_fmac_f32_e32 v64, 0xbf65296c, v59
	v_add_f32_e32 v31, v31, v17
	v_mov_b32_e32 v76, v75
	v_fmac_f32_e32 v71, 0x3f4c4adb, v58
	v_mul_f32_e32 v68, 0xbf59a7d5, v68
	v_add_f32_e32 v54, v64, v54
	v_fmac_f32_e32 v65, 0xbf7ee86f, v60
	v_add_f32_e32 v31, v21, v31
	v_fmac_f32_e32 v76, 0xbf65296c, v56
	v_fmac_f32_e32 v72, 0xbe3c28d5, v60
	v_add_f32_e32 v62, v71, v62
	v_mov_b32_e32 v71, v68
	v_add_f32_e32 v54, v65, v54
	v_fmac_f32_e32 v66, 0xbf763a35, v61
	v_add_f32_e32 v31, v25, v31
	v_add_f32_e32 v49, v76, v49
	v_mul_f32_e32 v76, 0x3f6eb680, v69
	v_add_f32_e32 v53, v72, v53
	v_fmac_f32_e32 v73, 0x3f06c442, v61
	v_fmac_f32_e32 v71, 0x3f06c442, v56
	v_mul_f32_e32 v69, 0xbf7ba420, v69
	v_add_f32_e32 v54, v66, v54
	v_fmac_f32_e32 v67, 0xbf4c4adb, v58
	v_add_f32_e32 v31, v29, v31
	v_mov_b32_e32 v77, v76
	v_add_f32_e32 v53, v73, v53
	v_fmac_f32_e32 v74, 0x3f763a35, v58
	v_add_f32_e32 v62, v71, v62
	v_mov_b32_e32 v71, v69
	v_add_f32_e32 v54, v67, v54
	v_fmac_f32_e32 v68, 0xbf06c442, v56
	v_add_f32_e32 v31, v35, v31
	v_fmac_f32_e32 v77, 0xbeb8f4ab, v55
	;; [unrolled: 2-line block ×3, first 2 shown]
	v_fmac_f32_e32 v76, 0x3eb8f4ab, v55
	v_fmac_f32_e32 v71, 0x3e3c28d5, v55
	v_add_f32_e32 v54, v68, v54
	v_fmac_f32_e32 v69, 0xbe3c28d5, v55
	v_add_f32_e32 v55, v39, v31
	v_mul_u32_u24_e32 v31, 0x44, v3
	v_add_f32_e32 v53, v75, v53
	v_add_f32_e32 v54, v69, v54
	v_add3_u32 v31, 0, v31, v0
	v_add_f32_e32 v49, v77, v49
	v_add_f32_e32 v53, v76, v53
	;; [unrolled: 1-line block ×3, first 2 shown]
	ds_write2_b32 v31, v55, v54 offset1:1
	ds_write2_b32 v31, v53, v52 offset0:2 offset1:3
	ds_write2_b32 v31, v51, v50 offset0:4 offset1:5
	;; [unrolled: 1-line block ×7, first 2 shown]
	ds_write_b32 v31, v62 offset:64
.LBB0_12:
	s_or_b64 exec, exec, s[2:3]
	v_lshlrev_b32_e32 v4, 2, v3
	v_add_u32_e32 v63, 0, v4
	s_waitcnt vmcnt(16)
	v_add_u32_e32 v31, v63, v0
	v_add_u32_e32 v59, 0x200, v31
	;; [unrolled: 1-line block ×7, first 2 shown]
	s_waitcnt vmcnt(0) lgkmcnt(0)
	s_barrier
	v_add3_u32 v55, 0, v0, v4
	ds_read2_b32 v[41:42], v59 offset0:76 offset1:144
	ds_read2_b32 v[47:48], v61 offset0:92 offset1:160
	;; [unrolled: 1-line block ×7, first 2 shown]
	ds_read_b32 v4, v55
	ds_read_b32 v62, v31 offset:4080
	s_waitcnt lgkmcnt(0)
	s_barrier
	s_and_saveexec_b64 s[2:3], s[0:1]
	s_cbranch_execz .LBB0_14
; %bb.13:
	v_add_f32_e32 v64, v32, v38
	v_add_f32_e32 v64, v64, v34
	;; [unrolled: 1-line block ×14, first 2 shown]
	v_sub_f32_e32 v37, v37, v39
	v_add_f32_e32 v64, v36, v64
	v_add_f32_e32 v38, v38, v40
	v_mul_f32_e32 v39, 0xbeb8f4ab, v37
	s_mov_b32 s8, 0x3f6eb680
	v_mul_f32_e32 v65, 0xbf2c7751, v37
	s_mov_b32 s6, 0x3f3d2fb0
	;; [unrolled: 2-line block ×8, first 2 shown]
	v_sub_f32_e32 v33, v33, v35
	v_add_f32_e32 v64, v40, v64
	v_fma_f32 v40, v38, s8, -v39
	v_fmac_f32_e32 v39, 0x3f6eb680, v38
	v_fma_f32 v66, v38, s6, -v65
	v_fmac_f32_e32 v65, 0x3f3d2fb0, v38
	;; [unrolled: 2-line block ×8, first 2 shown]
	v_add_f32_e32 v34, v34, v36
	v_mul_f32_e32 v35, 0xbf2c7751, v33
	v_add_f32_e32 v40, v32, v40
	v_add_f32_e32 v39, v32, v39
	;; [unrolled: 1-line block ×16, first 2 shown]
	v_fma_f32 v36, v34, s6, -v35
	v_fmac_f32_e32 v35, 0x3f3d2fb0, v34
	v_mul_f32_e32 v37, 0xbf7ee86f, v33
	v_add_f32_e32 v35, v39, v35
	v_fma_f32 v38, v34, s0, -v37
	v_fmac_f32_e32 v37, 0x3dbcf732, v34
	v_mul_f32_e32 v39, 0xbf4c4adb, v33
	v_add_f32_e32 v36, v40, v36
	v_add_f32_e32 v37, v65, v37
	v_fma_f32 v40, v34, s9, -v39
	v_fmac_f32_e32 v39, 0xbf1a4643, v34
	v_mul_f32_e32 v65, 0xbe3c28d5, v33
	v_add_f32_e32 v38, v66, v38
	;; [unrolled: 5-line block ×4, first 2 shown]
	v_add_f32_e32 v67, v71, v67
	v_fma_f32 v70, v34, s7, -v69
	v_fmac_f32_e32 v69, 0xbe8c1d8e, v34
	v_mul_f32_e32 v71, 0x3f65296c, v33
	v_mul_f32_e32 v33, 0x3eb8f4ab, v33
	v_sub_f32_e32 v27, v27, v29
	v_add_f32_e32 v69, v73, v69
	v_fma_f32 v73, v34, s8, -v33
	v_fmac_f32_e32 v33, 0x3f6eb680, v34
	v_add_f32_e32 v28, v28, v30
	v_mul_f32_e32 v29, 0xbf65296c, v27
	v_add_f32_e32 v32, v32, v33
	v_fma_f32 v30, v28, s1, -v29
	v_fmac_f32_e32 v29, 0x3ee437d1, v28
	v_mul_f32_e32 v33, 0xbf4c4adb, v27
	v_add_f32_e32 v68, v72, v68
	v_fma_f32 v72, v34, s1, -v71
	v_fmac_f32_e32 v71, 0x3ee437d1, v34
	v_add_f32_e32 v29, v29, v35
	v_fma_f32 v34, v28, s9, -v33
	v_fmac_f32_e32 v33, 0xbf1a4643, v28
	v_mul_f32_e32 v35, 0x3e3c28d5, v27
	v_add_f32_e32 v30, v30, v36
	v_add_f32_e32 v33, v33, v37
	v_fma_f32 v36, v28, s15, -v35
	v_fmac_f32_e32 v35, 0xbf7ba420, v28
	v_mul_f32_e32 v37, 0x3f763a35, v27
	v_add_f32_e32 v34, v34, v38
	v_add_f32_e32 v35, v35, v39
	v_fma_f32 v38, v28, s7, -v37
	v_fmac_f32_e32 v37, 0xbe8c1d8e, v28
	v_mul_f32_e32 v39, 0x3f2c7751, v27
	v_add_f32_e32 v36, v36, v40
	v_add_f32_e32 v37, v37, v65
	v_fma_f32 v40, v28, s6, -v39
	v_fmac_f32_e32 v39, 0x3f3d2fb0, v28
	v_mul_f32_e32 v65, 0xbeb8f4ab, v27
	v_sub_f32_e32 v23, v23, v25
	v_add_f32_e32 v38, v38, v66
	v_add_f32_e32 v39, v39, v67
	v_fma_f32 v66, v28, s8, -v65
	v_fmac_f32_e32 v65, 0x3f6eb680, v28
	v_mul_f32_e32 v67, 0xbf7ee86f, v27
	v_mul_f32_e32 v27, 0xbf06c442, v27
	v_add_f32_e32 v24, v24, v26
	v_mul_f32_e32 v25, 0xbf7ee86f, v23
	v_add_f32_e32 v40, v40, v68
	v_add_f32_e32 v65, v65, v69
	v_fma_f32 v68, v28, s0, -v67
	v_fmac_f32_e32 v67, 0x3dbcf732, v28
	v_fma_f32 v69, v28, s14, -v27
	v_fmac_f32_e32 v27, 0xbf59a7d5, v28
	v_fma_f32 v26, v24, s0, -v25
	v_fmac_f32_e32 v25, 0x3dbcf732, v24
	v_mul_f32_e32 v28, 0xbe3c28d5, v23
	v_add_f32_e32 v26, v26, v30
	v_add_f32_e32 v25, v25, v29
	v_fma_f32 v29, v24, s15, -v28
	v_fmac_f32_e32 v28, 0xbf7ba420, v24
	v_mul_f32_e32 v30, 0x3f763a35, v23
	v_add_f32_e32 v27, v27, v32
	v_add_f32_e32 v28, v28, v33
	v_fma_f32 v32, v24, s7, -v30
	v_fmac_f32_e32 v30, 0xbe8c1d8e, v24
	v_mul_f32_e32 v33, 0x3eb8f4ab, v23
	v_add_f32_e32 v29, v29, v34
	v_add_f32_e32 v30, v30, v35
	v_fma_f32 v34, v24, s8, -v33
	v_fmac_f32_e32 v33, 0x3f6eb680, v24
	v_mul_f32_e32 v35, 0xbf65296c, v23
	v_add_f32_e32 v32, v32, v36
	v_add_f32_e32 v33, v33, v37
	v_fma_f32 v36, v24, s1, -v35
	v_fmac_f32_e32 v35, 0x3ee437d1, v24
	v_mul_f32_e32 v37, 0xbf06c442, v23
	v_sub_f32_e32 v19, v19, v21
	v_add_f32_e32 v34, v34, v38
	v_add_f32_e32 v35, v35, v39
	v_fma_f32 v38, v24, s14, -v37
	v_fmac_f32_e32 v37, 0xbf59a7d5, v24
	v_mul_f32_e32 v39, 0x3f4c4adb, v23
	v_mul_f32_e32 v23, 0x3f2c7751, v23
	v_add_f32_e32 v20, v20, v22
	v_mul_f32_e32 v21, 0xbf763a35, v19
	v_add_f32_e32 v36, v36, v40
	v_add_f32_e32 v37, v37, v65
	v_fma_f32 v40, v24, s9, -v39
	v_fmac_f32_e32 v39, 0xbf1a4643, v24
	v_fma_f32 v65, v24, s6, -v23
	v_fmac_f32_e32 v23, 0x3f3d2fb0, v24
	v_fma_f32 v22, v20, s7, -v21
	v_fmac_f32_e32 v21, 0xbe8c1d8e, v20
	v_mul_f32_e32 v24, 0x3f06c442, v19
	v_add_f32_e32 v22, v22, v26
	;; [unrolled: 38-line block ×5, first 2 shown]
	v_add_f32_e32 v9, v9, v13
	v_fma_f32 v13, v8, s8, -v12
	v_fmac_f32_e32 v12, 0x3f6eb680, v8
	v_mul_f32_e32 v14, 0xbf06c442, v7
	v_add_f32_e32 v70, v74, v70
	v_add_f32_e32 v72, v76, v72
	v_add_f32_e32 v71, v75, v71
	v_add_f32_e32 v73, v77, v73
	v_add_f32_e32 v11, v11, v15
	v_add_f32_e32 v12, v12, v16
	v_fma_f32 v15, v8, s14, -v14
	v_fmac_f32_e32 v14, 0xbf59a7d5, v8
	v_mul_f32_e32 v16, 0x3f2c7751, v7
	v_add_f32_e32 v66, v66, v70
	v_add_f32_e32 v68, v68, v72
	v_add_f32_e32 v67, v67, v71
	v_add_f32_e32 v69, v69, v73
	v_add_f32_e32 v13, v13, v17
	v_add_f32_e32 v14, v14, v18
	v_fma_f32 v17, v8, s6, -v16
	v_fmac_f32_e32 v16, 0x3f3d2fb0, v8
	v_mul_f32_e32 v18, 0xbf4c4adb, v7
	v_add_f32_e32 v38, v38, v66
	v_add_f32_e32 v40, v40, v68
	v_add_f32_e32 v39, v39, v67
	v_add_f32_e32 v65, v65, v69
	v_add_f32_e32 v15, v15, v19
	v_add_f32_e32 v16, v16, v20
	v_fma_f32 v19, v8, s9, -v18
	v_fmac_f32_e32 v18, 0xbf1a4643, v8
	v_mul_f32_e32 v20, 0x3f65296c, v7
	v_add_f32_e32 v34, v34, v38
	v_add_f32_e32 v36, v36, v40
	v_add_f32_e32 v35, v35, v39
	v_add_f32_e32 v37, v37, v65
	v_add_f32_e32 v17, v17, v21
	v_add_f32_e32 v18, v18, v22
	v_fma_f32 v21, v8, s1, -v20
	v_fmac_f32_e32 v20, 0x3ee437d1, v8
	v_mul_f32_e32 v22, 0xbf763a35, v7
	v_mul_f32_e32 v7, 0x3f7ee86f, v7
	v_add_f32_e32 v29, v29, v34
	v_add_f32_e32 v32, v32, v36
	;; [unrolled: 1-line block ×6, first 2 shown]
	v_fma_f32 v23, v8, s7, -v22
	v_fmac_f32_e32 v22, 0xbe8c1d8e, v8
	v_fma_f32 v24, v8, s0, -v7
	v_fmac_f32_e32 v7, 0x3dbcf732, v8
	v_lshlrev_b32_e32 v8, 6, v3
	v_add_f32_e32 v25, v25, v29
	v_add_f32_e32 v27, v27, v32
	;; [unrolled: 1-line block ×4, first 2 shown]
	v_add3_u32 v8, v63, v8, v0
	v_add_f32_e32 v21, v21, v25
	v_add_f32_e32 v23, v23, v27
	;; [unrolled: 1-line block ×5, first 2 shown]
	ds_write2_b32 v8, v64, v10 offset1:1
	ds_write2_b32 v8, v13, v15 offset0:2 offset1:3
	ds_write2_b32 v8, v17, v19 offset0:4 offset1:5
	;; [unrolled: 1-line block ×7, first 2 shown]
	ds_write_b32 v8, v9 offset:64
.LBB0_14:
	s_or_b64 exec, exec, s[2:3]
	v_add_u32_e32 v23, 0x44, v3
	s_movk_i32 s0, 0xf1
	v_mul_lo_u16_sdwa v7, v23, s0 dst_sel:DWORD dst_unused:UNUSED_PAD src0_sel:BYTE_0 src1_sel:DWORD
	v_lshrrev_b16_e32 v40, 12, v7
	v_mul_lo_u16_e32 v7, 17, v40
	v_add_u32_e32 v25, 0x88, v3
	v_mov_b32_e32 v30, 3
	v_sub_u16_e32 v71, v23, v7
	v_mul_lo_u16_sdwa v11, v25, s0 dst_sel:DWORD dst_unused:UNUSED_PAD src0_sel:BYTE_0 src1_sel:DWORD
	v_mul_u32_u24_sdwa v7, v71, v30 dst_sel:DWORD dst_unused:UNUSED_PAD src0_sel:BYTE_0 src1_sel:DWORD
	v_lshrrev_b16_e32 v72, 12, v11
	v_lshlrev_b32_e32 v19, 3, v7
	v_mul_lo_u16_sdwa v15, v3, s0 dst_sel:DWORD dst_unused:UNUSED_PAD src0_sel:BYTE_0 src1_sel:DWORD
	v_mul_lo_u16_e32 v11, 17, v72
	s_load_dwordx2 s[6:7], s[4:5], 0x0
	s_waitcnt lgkmcnt(0)
	s_barrier
	global_load_dwordx4 v[7:10], v19, s[12:13]
	global_load_dwordx2 v[28:29], v19, s[12:13] offset:16
	v_sub_u16_e32 v73, v25, v11
	v_lshrrev_b16_e32 v74, 12, v15
	v_mul_u32_u24_sdwa v11, v73, v30 dst_sel:DWORD dst_unused:UNUSED_PAD src0_sel:BYTE_0 src1_sel:DWORD
	v_mul_lo_u16_e32 v15, 17, v74
	v_add_u32_e32 v24, 0xcc, v3
	s_mov_b32 s0, 0xf0f1
	v_lshlrev_b32_e32 v20, 3, v11
	v_sub_u16_e32 v75, v3, v15
	v_mul_u32_u24_sdwa v76, v24, s0 dst_sel:DWORD dst_unused:UNUSED_PAD src0_sel:WORD_0 src1_sel:DWORD
	global_load_dwordx4 v[11:14], v20, s[12:13]
	global_load_dwordx2 v[32:33], v20, s[12:13] offset:16
	v_mul_u32_u24_sdwa v15, v75, v30 dst_sel:DWORD dst_unused:UNUSED_PAD src0_sel:BYTE_0 src1_sel:DWORD
	v_lshrrev_b32_e32 v77, 20, v76
	v_lshlrev_b32_e32 v21, 3, v15
	v_mul_lo_u16_e32 v19, 17, v77
	global_load_dwordx4 v[15:18], v21, s[12:13]
	global_load_dwordx2 v[26:27], v21, s[12:13] offset:16
	v_sub_u16_e32 v78, v24, v19
	v_mul_u32_u24_e32 v19, 3, v78
	v_lshlrev_b32_e32 v36, 3, v19
	global_load_dwordx4 v[19:22], v36, s[12:13]
	global_load_dwordx2 v[34:35], v36, s[12:13] offset:16
	ds_read2_b32 v[36:37], v59 offset0:76 offset1:144
	ds_read2_b32 v[38:39], v57 offset0:84 offset1:152
	;; [unrolled: 1-line block ×6, first 2 shown]
	s_movk_i32 s0, 0x110
	s_waitcnt vmcnt(7) lgkmcnt(4)
	v_mul_f32_e32 v79, v38, v8
	v_mul_f32_e32 v8, v53, v8
	v_fmac_f32_e32 v79, v53, v7
	v_fma_f32 v38, v38, v7, -v8
	ds_read2_b32 v[7:8], v58 offset0:116 offset1:184
	s_waitcnt lgkmcnt(3)
	v_mul_f32_e32 v80, v65, v10
	v_mul_f32_e32 v10, v51, v10
	v_fmac_f32_e32 v80, v51, v9
	v_fma_f32 v9, v65, v9, -v10
	ds_read_b32 v51, v55
	ds_read_b32 v53, v31 offset:4080
	s_waitcnt lgkmcnt(3)
	v_sub_f32_e32 v9, v69, v9
	s_waitcnt vmcnt(5)
	v_mul_f32_e32 v10, v39, v12
	v_mul_f32_e32 v12, v54, v12
	v_fmac_f32_e32 v10, v54, v11
	v_fma_f32 v11, v39, v11, -v12
	v_mul_f32_e32 v39, v66, v14
	v_mul_f32_e32 v14, v52, v14
	s_waitcnt vmcnt(3)
	v_mul_f32_e32 v12, v37, v16
	v_fmac_f32_e32 v39, v52, v13
	v_mul_f32_e32 v16, v42, v16
	v_fma_f32 v13, v66, v13, -v14
	v_mul_f32_e32 v14, v64, v18
	v_mul_f32_e32 v18, v48, v18
	s_waitcnt vmcnt(2)
	v_mul_f32_e32 v52, v68, v27
	v_mul_f32_e32 v27, v46, v27
	s_waitcnt lgkmcnt(2)
	v_mul_f32_e32 v54, v7, v29
	v_mul_f32_e32 v29, v49, v29
	v_fmac_f32_e32 v12, v42, v15
	v_fma_f32 v15, v37, v15, -v16
	v_fma_f32 v16, v64, v17, -v18
	v_mul_f32_e32 v18, v50, v33
	v_fmac_f32_e32 v52, v46, v26
	v_fma_f32 v26, v68, v26, -v27
	v_fmac_f32_e32 v14, v48, v17
	v_mul_f32_e32 v17, v8, v33
	s_waitcnt vmcnt(1)
	v_mul_f32_e32 v33, v63, v20
	v_fma_f32 v7, v7, v28, -v29
	v_fma_f32 v8, v8, v32, -v18
	v_mul_f32_e32 v18, v47, v20
	s_waitcnt lgkmcnt(1)
	v_sub_f32_e32 v16, v51, v16
	v_sub_f32_e32 v26, v15, v26
	v_fmac_f32_e32 v33, v47, v19
	v_fma_f32 v18, v63, v19, -v18
	v_mul_f32_e32 v19, v67, v22
	v_mul_f32_e32 v20, v45, v22
	v_fma_f32 v27, v51, 2.0, -v16
	v_fma_f32 v15, v15, 2.0, -v26
	v_sub_f32_e32 v7, v38, v7
	v_fmac_f32_e32 v19, v45, v21
	v_fma_f32 v20, v67, v21, -v20
	s_waitcnt vmcnt(0) lgkmcnt(0)
	v_mul_f32_e32 v21, v53, v35
	v_mul_f32_e32 v22, v62, v35
	v_sub_f32_e32 v15, v27, v15
	v_fma_f32 v29, v69, 2.0, -v9
	v_fma_f32 v35, v38, 2.0, -v7
	v_fmac_f32_e32 v54, v49, v28
	v_fmac_f32_e32 v21, v62, v34
	v_sub_f32_e32 v28, v12, v52
	v_fma_f32 v42, v27, 2.0, -v15
	v_sub_f32_e32 v27, v43, v80
	v_sub_f32_e32 v38, v29, v35
	v_fmac_f32_e32 v17, v50, v32
	v_sub_f32_e32 v14, v4, v14
	v_fma_f32 v12, v12, 2.0, -v28
	v_sub_f32_e32 v45, v16, v28
	v_fma_f32 v28, v43, 2.0, -v27
	;; [unrolled: 2-line block ×3, first 2 shown]
	v_sub_f32_e32 v29, v44, v39
	v_sub_f32_e32 v20, v36, v20
	;; [unrolled: 1-line block ×3, first 2 shown]
	v_fma_f32 v22, v53, v34, -v22
	v_fma_f32 v4, v4, 2.0, -v14
	v_fma_f32 v34, v79, 2.0, -v32
	v_sub_f32_e32 v46, v9, v32
	v_fma_f32 v32, v44, 2.0, -v29
	v_sub_f32_e32 v44, v20, v21
	v_mov_b32_e32 v54, 2
	v_sub_f32_e32 v12, v4, v12
	v_add_f32_e32 v26, v14, v26
	v_fma_f32 v36, v36, 2.0, -v20
	v_fma_f32 v33, v33, 2.0, -v21
	;; [unrolled: 1-line block ×3, first 2 shown]
	v_mad_u32_u24 v20, v74, s0, 0
	v_lshlrev_b32_sdwa v21, v54, v75 dst_sel:DWORD dst_unused:UNUSED_PAD src0_sel:DWORD src1_sel:BYTE_0
	v_fma_f32 v4, v4, 2.0, -v12
	v_fma_f32 v14, v14, 2.0, -v26
	v_add3_u32 v48, v20, v21, v0
	v_sub_f32_e32 v34, v28, v34
	v_add_f32_e32 v7, v27, v7
	v_sub_f32_e32 v13, v70, v13
	v_sub_f32_e32 v17, v10, v17
	;; [unrolled: 1-line block ×3, first 2 shown]
	s_barrier
	ds_write2_b32 v48, v4, v14 offset1:17
	ds_write2_b32 v48, v12, v26 offset0:34 offset1:51
	v_mad_u32_u24 v4, v40, s0, 0
	v_lshlrev_b32_sdwa v12, v54, v71 dst_sel:DWORD dst_unused:UNUSED_PAD src0_sel:DWORD src1_sel:BYTE_0
	v_fma_f32 v28, v28, 2.0, -v34
	v_fma_f32 v27, v27, 2.0, -v7
	;; [unrolled: 1-line block ×5, first 2 shown]
	v_add3_u32 v4, v4, v12, v0
	v_sub_f32_e32 v10, v32, v10
	v_sub_f32_e32 v11, v35, v11
	v_add_f32_e32 v8, v29, v8
	v_sub_f32_e32 v19, v41, v19
	ds_write2_b32 v4, v28, v27 offset1:17
	ds_write2_b32 v4, v34, v7 offset0:34 offset1:51
	v_mad_u32_u24 v7, v72, s0, 0
	v_lshlrev_b32_sdwa v12, v54, v73 dst_sel:DWORD dst_unused:UNUSED_PAD src0_sel:DWORD src1_sel:BYTE_0
	v_fma_f32 v32, v32, 2.0, -v10
	v_fma_f32 v39, v35, 2.0, -v11
	;; [unrolled: 1-line block ×4, first 2 shown]
	v_sub_f32_e32 v22, v18, v22
	v_add3_u32 v7, v7, v12, v0
	v_fma_f32 v18, v18, 2.0, -v22
	v_sub_f32_e32 v33, v35, v33
	v_add_f32_e32 v22, v19, v22
	ds_write2_b32 v7, v32, v29 offset1:17
	ds_write2_b32 v7, v10, v8 offset0:34 offset1:51
	v_mad_u32_u24 v8, v77, s0, 0
	v_lshlrev_b32_e32 v10, 2, v78
	v_fma_f32 v16, v16, 2.0, -v45
	v_sub_f32_e32 v17, v13, v17
	v_sub_f32_e32 v18, v36, v18
	v_fma_f32 v35, v35, 2.0, -v33
	v_fma_f32 v19, v19, 2.0, -v22
	v_add3_u32 v8, v8, v10, v0
	v_fma_f32 v9, v9, 2.0, -v46
	v_fma_f32 v13, v13, 2.0, -v17
	;; [unrolled: 1-line block ×3, first 2 shown]
	ds_write2_b32 v8, v35, v19 offset1:17
	ds_write2_b32 v8, v33, v22 offset0:34 offset1:51
	s_waitcnt lgkmcnt(0)
	s_barrier
	ds_read2_b32 v[19:20], v59 offset0:76 offset1:144
	ds_read2_b32 v[21:22], v61 offset0:92 offset1:160
	;; [unrolled: 1-line block ×7, first 2 shown]
	ds_read_b32 v66, v55
	ds_read_b32 v67, v31 offset:4080
	s_waitcnt lgkmcnt(0)
	s_barrier
	ds_write2_b32 v48, v42, v16 offset1:17
	ds_write2_b32 v48, v15, v45 offset0:34 offset1:51
	ds_write2_b32 v4, v43, v9 offset1:17
	ds_write2_b32 v4, v38, v46 offset0:34 offset1:51
	;; [unrolled: 2-line block ×4, first 2 shown]
	v_mul_u32_u24_e32 v4, 3, v3
	v_lshlrev_b32_e32 v4, 3, v4
	s_movk_i32 s0, 0x79
	s_waitcnt lgkmcnt(0)
	s_barrier
	global_load_dwordx4 v[7:10], v4, s[12:13] offset:408
	global_load_dwordx2 v[38:39], v4, s[12:13] offset:424
	v_mul_lo_u16_sdwa v4, v25, s0 dst_sel:DWORD dst_unused:UNUSED_PAD src0_sel:BYTE_0 src1_sel:DWORD
	v_lshrrev_b16_e32 v4, 13, v4
	v_mul_lo_u16_e32 v4, 0x44, v4
	v_sub_u16_e32 v4, v25, v4
	v_mul_u32_u24_sdwa v11, v4, v30 dst_sel:DWORD dst_unused:UNUSED_PAD src0_sel:BYTE_0 src1_sel:DWORD
	v_lshlrev_b32_e32 v15, 3, v11
	global_load_dwordx4 v[11:14], v15, s[12:13] offset:408
	global_load_dwordx2 v[40:41], v15, s[12:13] offset:424
	v_lshrrev_b32_e32 v15, 22, v76
	v_mul_lo_u16_e32 v15, 0x44, v15
	v_sub_u16_e32 v30, v24, v15
	v_mul_u32_u24_e32 v15, 3, v30
	v_lshlrev_b32_e32 v44, 3, v15
	global_load_dwordx4 v[15:18], v44, s[12:13] offset:408
	global_load_dwordx2 v[42:43], v44, s[12:13] offset:424
	ds_read2_b32 v[44:45], v59 offset0:76 offset1:144
	ds_read2_b32 v[46:47], v61 offset0:92 offset1:160
	;; [unrolled: 1-line block ×7, first 2 shown]
	ds_read_b32 v68, v55
	ds_read_b32 v69, v31 offset:4080
	s_waitcnt vmcnt(0) lgkmcnt(0)
	s_barrier
	v_lshlrev_b32_sdwa v4, v54, v4 dst_sel:DWORD dst_unused:UNUSED_PAD src0_sel:DWORD src1_sel:BYTE_0
	v_add3_u32 v4, 0, v4, v0
	v_add_u32_e32 v4, 0x800, v4
	v_mul_f32_e32 v70, v45, v8
	v_fmac_f32_e32 v70, v20, v7
	v_mul_f32_e32 v20, v20, v8
	v_fma_f32 v20, v45, v7, -v20
	v_mul_f32_e32 v45, v47, v10
	v_fmac_f32_e32 v45, v22, v9
	v_mul_f32_e32 v22, v22, v10
	v_fma_f32 v22, v47, v9, -v22
	v_mul_f32_e32 v47, v49, v39
	v_fmac_f32_e32 v47, v27, v38
	v_mul_f32_e32 v27, v27, v39
	v_fma_f32 v27, v49, v38, -v27
	v_mul_f32_e32 v49, v52, v8
	v_mul_f32_e32 v8, v32, v8
	v_fmac_f32_e32 v49, v32, v7
	v_fma_f32 v7, v52, v7, -v8
	v_mul_f32_e32 v8, v62, v10
	v_fmac_f32_e32 v8, v34, v9
	v_mul_f32_e32 v10, v34, v10
	v_mul_f32_e32 v34, v53, v12
	;; [unrolled: 1-line block ×3, first 2 shown]
	v_fmac_f32_e32 v34, v33, v11
	v_fma_f32 v11, v53, v11, -v12
	v_mul_f32_e32 v12, v63, v14
	v_fmac_f32_e32 v12, v35, v13
	v_mul_f32_e32 v14, v35, v14
	v_mul_f32_e32 v35, v46, v16
	;; [unrolled: 1-line block ×3, first 2 shown]
	v_fma_f32 v9, v62, v9, -v10
	v_mul_f32_e32 v10, v64, v39
	v_mul_f32_e32 v32, v36, v39
	v_fmac_f32_e32 v35, v21, v15
	v_fma_f32 v15, v46, v15, -v16
	v_mul_f32_e32 v16, v48, v18
	v_fmac_f32_e32 v10, v36, v38
	v_fma_f32 v32, v64, v38, -v32
	v_fma_f32 v13, v63, v13, -v14
	v_mul_f32_e32 v14, v65, v41
	v_fmac_f32_e32 v16, v26, v17
	v_mul_f32_e32 v18, v26, v18
	v_sub_f32_e32 v26, v66, v45
	v_sub_f32_e32 v22, v68, v22
	;; [unrolled: 1-line block ×4, first 2 shown]
	v_fmac_f32_e32 v14, v37, v40
	v_mul_f32_e32 v33, v37, v41
	v_fma_f32 v36, v66, 2.0, -v26
	v_fma_f32 v37, v68, 2.0, -v22
	;; [unrolled: 1-line block ×4, first 2 shown]
	v_fma_f32 v33, v65, v40, -v33
	v_sub_f32_e32 v39, v36, v39
	v_sub_f32_e32 v40, v37, v20
	v_fma_f32 v20, v36, 2.0, -v39
	v_fma_f32 v36, v37, 2.0, -v40
	v_sub_f32_e32 v37, v22, v38
	v_sub_f32_e32 v8, v28, v8
	;; [unrolled: 1-line block ×3, first 2 shown]
	v_fma_f32 v38, v22, 2.0, -v37
	v_sub_f32_e32 v9, v50, v9
	v_fma_f32 v22, v28, 2.0, -v8
	v_sub_f32_e32 v32, v7, v32
	v_fma_f32 v41, v49, 2.0, -v10
	v_fma_f32 v17, v48, v17, -v18
	v_mul_f32_e32 v18, v69, v43
	v_mul_f32_e32 v21, v67, v43
	v_fma_f32 v28, v50, 2.0, -v9
	v_fma_f32 v7, v7, 2.0, -v32
	v_sub_f32_e32 v41, v22, v41
	v_sub_f32_e32 v12, v29, v12
	v_sub_f32_e32 v13, v51, v13
	v_sub_f32_e32 v14, v34, v14
	v_sub_f32_e32 v33, v11, v33
	v_fmac_f32_e32 v18, v67, v42
	v_fma_f32 v21, v69, v42, -v21
	v_sub_f32_e32 v42, v28, v7
	v_fma_f32 v7, v22, 2.0, -v41
	v_add_f32_e32 v22, v8, v32
	v_fma_f32 v29, v29, 2.0, -v12
	v_fma_f32 v32, v51, 2.0, -v13
	;; [unrolled: 1-line block ×4, first 2 shown]
	v_sub_f32_e32 v34, v29, v34
	v_sub_f32_e32 v43, v32, v11
	v_fma_f32 v11, v29, 2.0, -v34
	v_fma_f32 v29, v32, 2.0, -v43
	v_add_f32_e32 v32, v12, v33
	v_sub_f32_e32 v33, v13, v14
	v_add_f32_e32 v27, v26, v27
	v_fma_f32 v45, v13, 2.0, -v33
	v_sub_f32_e32 v13, v19, v16
	v_sub_f32_e32 v18, v35, v18
	v_fma_f32 v26, v26, 2.0, -v27
	v_sub_f32_e32 v14, v44, v17
	v_fma_f32 v16, v19, 2.0, -v13
	v_sub_f32_e32 v19, v15, v21
	v_fma_f32 v21, v35, 2.0, -v18
	v_fma_f32 v8, v8, 2.0, -v22
	v_fma_f32 v17, v44, 2.0, -v14
	;; [unrolled: 1-line block ×3, first 2 shown]
	v_sub_f32_e32 v21, v16, v21
	ds_write2_b32 v31, v20, v26 offset1:68
	ds_write2_b32 v31, v39, v27 offset0:136 offset1:204
	ds_write2_b32 v57, v7, v8 offset0:16 offset1:84
	;; [unrolled: 1-line block ×3, first 2 shown]
	v_lshlrev_b32_e32 v7, 2, v30
	v_sub_f32_e32 v35, v17, v15
	v_fma_f32 v15, v16, 2.0, -v21
	v_add_f32_e32 v16, v13, v19
	v_add3_u32 v0, 0, v7, v0
	v_sub_f32_e32 v10, v9, v10
	v_fma_f32 v12, v12, 2.0, -v32
	v_sub_f32_e32 v46, v14, v18
	v_fma_f32 v13, v13, 2.0, -v16
	v_add_u32_e32 v0, 0xc00, v0
	v_fma_f32 v28, v28, 2.0, -v42
	v_fma_f32 v9, v9, 2.0, -v10
	;; [unrolled: 1-line block ×4, first 2 shown]
	ds_write2_b32 v4, v11, v12 offset0:32 offset1:100
	ds_write2_b32 v4, v34, v32 offset0:168 offset1:236
	;; [unrolled: 1-line block ×4, first 2 shown]
	s_waitcnt lgkmcnt(0)
	s_barrier
	ds_read2_b32 v[7:8], v61 offset0:92 offset1:160
	ds_read2_b32 v[11:12], v31 offset0:68 offset1:136
	;; [unrolled: 1-line block ×7, first 2 shown]
	ds_read_b32 v30, v55
	ds_read_b32 v50, v31 offset:4080
	s_waitcnt lgkmcnt(0)
	s_barrier
	ds_write2_b32 v31, v36, v38 offset1:68
	ds_write2_b32 v31, v40, v37 offset0:136 offset1:204
	ds_write2_b32 v57, v28, v9 offset0:16 offset1:84
	;; [unrolled: 1-line block ×7, first 2 shown]
	v_mov_b32_e32 v4, 0
	v_lshlrev_b64 v[9:10], 3, v[3:4]
	v_mov_b32_e32 v0, s13
	v_add_co_u32_e64 v9, s[0:1], s12, v9
	v_addc_co_u32_e64 v10, s[0:1], v0, v10, s[0:1]
	s_waitcnt lgkmcnt(0)
	s_barrier
	global_load_dwordx2 v[26:27], v[9:10], off offset:2040
	global_load_dwordx2 v[28:29], v[9:10], off offset:2584
	;; [unrolled: 1-line block ×4, first 2 shown]
	ds_read2_b32 v[36:37], v61 offset0:92 offset1:160
	ds_read2_b32 v[38:39], v31 offset0:68 offset1:136
	;; [unrolled: 1-line block ×7, first 2 shown]
	ds_read_b32 v0, v55
	ds_read_b32 v4, v31 offset:4080
	s_waitcnt vmcnt(0) lgkmcnt(0)
	s_barrier
	v_mul_f32_e32 v51, v37, v27
	v_fmac_f32_e32 v51, v8, v26
	v_mul_f32_e32 v8, v8, v27
	v_fma_f32 v8, v37, v26, -v8
	v_mul_f32_e32 v37, v40, v29
	v_fmac_f32_e32 v37, v13, v28
	v_mul_f32_e32 v13, v13, v29
	v_fma_f32 v13, v40, v28, -v13
	;; [unrolled: 4-line block ×5, first 2 shown]
	v_mul_f32_e32 v26, v48, v29
	v_fmac_f32_e32 v26, v21, v28
	v_mul_f32_e32 v21, v21, v29
	v_mul_f32_e32 v27, v49, v33
	v_fma_f32 v21, v48, v28, -v21
	v_fmac_f32_e32 v27, v22, v32
	v_mul_f32_e32 v22, v22, v33
	v_mul_f32_e32 v28, v4, v35
	;; [unrolled: 1-line block ×3, first 2 shown]
	v_fma_f32 v22, v49, v32, -v22
	v_fmac_f32_e32 v28, v50, v34
	v_fma_f32 v4, v4, v34, -v29
	v_sub_f32_e32 v29, v30, v51
	v_sub_f32_e32 v32, v0, v8
	;; [unrolled: 1-line block ×3, first 2 shown]
	v_fma_f32 v8, v30, 2.0, -v29
	v_fma_f32 v30, v0, 2.0, -v32
	v_sub_f32_e32 v0, v11, v37
	v_fma_f32 v34, v38, 2.0, -v33
	v_sub_f32_e32 v13, v12, v40
	v_sub_f32_e32 v35, v39, v14
	;; [unrolled: 1-line block ×11, first 2 shown]
	v_fma_f32 v11, v11, 2.0, -v0
	v_fma_f32 v12, v12, 2.0, -v13
	;; [unrolled: 1-line block ×6, first 2 shown]
	v_sub_f32_e32 v28, v36, v4
	v_fma_f32 v4, v7, 2.0, -v22
	ds_write2_b32 v31, v8, v11 offset1:68
	ds_write2_b32 v57, v29, v0 offset0:16 offset1:84
	ds_write2_b32 v31, v12, v15 offset0:136 offset1:204
	;; [unrolled: 1-line block ×7, first 2 shown]
	s_waitcnt lgkmcnt(0)
	s_barrier
	ds_read2_b32 v[7:8], v61 offset0:92 offset1:160
	ds_read2_b32 v[11:12], v31 offset0:68 offset1:136
	;; [unrolled: 1-line block ×7, first 2 shown]
	ds_read_b32 v0, v55
	ds_read_b32 v4, v31 offset:4080
	v_fma_f32 v37, v39, 2.0, -v35
	v_fma_f32 v39, v42, 2.0, -v38
	;; [unrolled: 1-line block ×6, first 2 shown]
	s_waitcnt lgkmcnt(0)
	s_barrier
	ds_write2_b32 v31, v30, v34 offset1:68
	ds_write2_b32 v57, v32, v33 offset0:16 offset1:84
	ds_write2_b32 v31, v37, v39 offset0:136 offset1:204
	;; [unrolled: 1-line block ×7, first 2 shown]
	s_waitcnt lgkmcnt(0)
	s_barrier
	s_and_saveexec_b64 s[0:1], vcc
	s_cbranch_execz .LBB0_16
; %bb.15:
	v_add_co_u32_e32 v30, vcc, 0x220, v9
	s_mov_b64 s[0:1], vcc
	v_add_co_u32_e32 v40, vcc, 0x440, v9
	s_mov_b64 s[2:3], vcc
	;; [unrolled: 2-line block ×3, first 2 shown]
	v_add_co_u32_e32 v26, vcc, 0x1000, v9
	v_addc_co_u32_e32 v27, vcc, 0, v10, vcc
	s_movk_i32 s8, 0x1000
	v_addc_co_u32_e64 v9, vcc, 0, v10, s[4:5]
	v_add_co_u32_e32 v38, vcc, s8, v38
	v_addc_co_u32_e32 v39, vcc, 0, v9, vcc
	global_load_dwordx2 v[28:29], v[26:27], off offset:3928
	global_load_dwordx2 v[32:33], v[26:27], off offset:3384
	;; [unrolled: 1-line block ×4, first 2 shown]
	v_addc_co_u32_e64 v9, vcc, 0, v10, s[2:3]
	global_load_dwordx2 v[38:39], v[38:39], off offset:120
	v_add_co_u32_e32 v40, vcc, s8, v40
	v_addc_co_u32_e32 v41, vcc, 0, v9, vcc
	global_load_dwordx2 v[40:41], v[40:41], off offset:120
	v_addc_co_u32_e64 v10, vcc, 0, v10, s[0:1]
	v_add_co_u32_e32 v9, vcc, s8, v30
	v_addc_co_u32_e32 v10, vcc, 0, v10, vcc
	global_load_dwordx2 v[42:43], v[9:10], off offset:120
	global_load_dwordx2 v[44:45], v[26:27], off offset:120
	v_mul_lo_u32 v30, s7, v5
	v_mul_lo_u32 v52, s6, v6
	v_mad_u64_u32 v[5:6], s[2:3], s6, v5, 0
	v_add_u32_e32 v9, 0x600, v31
	v_add_u32_e32 v26, 0x400, v31
	;; [unrolled: 1-line block ×5, first 2 shown]
	ds_read_b32 v53, v31 offset:4080
	ds_read_b32 v54, v55
	ds_read2_b32 v[9:10], v9 offset0:92 offset1:160
	ds_read2_b32 v[26:27], v26 offset0:84 offset1:152
	;; [unrolled: 1-line block ×5, first 2 shown]
	v_add3_u32 v6, v6, v52, v30
	s_mov_b32 s1, 0xf0f0f0f1
	s_movk_i32 s0, 0x220
	s_waitcnt vmcnt(7)
	v_mul_f32_e32 v30, v4, v29
	s_waitcnt lgkmcnt(6)
	v_mul_f32_e32 v29, v53, v29
	s_waitcnt vmcnt(6)
	v_mul_f32_e32 v52, v22, v33
	s_waitcnt vmcnt(5)
	v_mul_f32_e32 v55, v21, v35
	s_waitcnt lgkmcnt(2)
	v_mul_f32_e32 v35, v46, v35
	v_fmac_f32_e32 v29, v4, v28
	v_fma_f32 v4, v32, v47, -v52
	v_fmac_f32_e32 v35, v21, v34
	v_sub_f32_e32 v21, v7, v29
	v_sub_f32_e32 v29, v27, v4
	s_waitcnt vmcnt(3)
	v_mul_f32_e32 v4, v17, v39
	v_mul_f32_e32 v33, v47, v33
	;; [unrolled: 1-line block ×3, first 2 shown]
	s_waitcnt lgkmcnt(0)
	v_mul_f32_e32 v57, v51, v37
	v_fma_f32 v4, v50, v38, -v4
	v_fma_f32 v30, v28, v53, -v30
	v_fmac_f32_e32 v33, v22, v32
	v_fma_f32 v32, v34, v46, -v55
	v_fma_f32 v34, v51, v36, -v56
	v_fmac_f32_e32 v57, v18, v36
	v_fma_f32 v36, v7, 2.0, -v21
	v_sub_f32_e32 v18, v48, v4
	v_mul_f32_e32 v4, v50, v39
	v_add_u32_e32 v7, 0x800, v31
	v_sub_f32_e32 v22, v9, v30
	v_fmac_f32_e32 v4, v17, v38
	ds_read2_b32 v[38:39], v7 offset0:100 offset1:168
	ds_read2_b32 v[30:31], v31 offset0:68 offset1:136
	v_sub_f32_e32 v17, v15, v4
	s_waitcnt vmcnt(2)
	v_mul_f32_e32 v4, v14, v41
	v_sub_f32_e32 v28, v20, v33
	v_sub_f32_e32 v33, v26, v32
	;; [unrolled: 1-line block ×4, first 2 shown]
	s_waitcnt lgkmcnt(1)
	v_fma_f32 v4, v39, v40, -v4
	v_fma_f32 v47, v27, 2.0, -v29
	v_fma_f32 v27, v49, 2.0, -v35
	s_waitcnt lgkmcnt(0)
	v_sub_f32_e32 v49, v31, v4
	v_mul_f32_e32 v4, v39, v41
	v_sub_f32_e32 v34, v16, v57
	v_fmac_f32_e32 v4, v14, v40
	v_fma_f32 v46, v20, 2.0, -v28
	v_fma_f32 v20, v26, 2.0, -v33
	;; [unrolled: 1-line block ×4, first 2 shown]
	v_sub_f32_e32 v48, v12, v4
	s_waitcnt vmcnt(1)
	v_mul_f32_e32 v4, v13, v43
	v_fma_f32 v4, v38, v42, -v4
	v_sub_f32_e32 v14, v30, v4
	v_fma_f32 v51, v31, 2.0, -v49
	v_fma_f32 v50, v12, 2.0, -v48
	;; [unrolled: 1-line block ×3, first 2 shown]
	v_mul_f32_e32 v4, v38, v43
	v_mad_u64_u32 v[30:31], s[2:3], s20, v3, 0
	v_fmac_f32_e32 v4, v13, v42
	v_sub_f32_e32 v13, v11, v4
	s_waitcnt vmcnt(0)
	v_mul_f32_e32 v4, v8, v45
	v_fma_f32 v4, v10, v44, -v4
	v_fma_f32 v37, v9, 2.0, -v22
	v_sub_f32_e32 v9, v54, v4
	v_mul_f32_e32 v7, v10, v45
	v_mov_b32_e32 v4, v31
	v_mad_u64_u32 v[40:41], s[2:3], s21, v3, v[4:5]
	v_fmac_f32_e32 v7, v8, v44
	v_lshlrev_b64 v[4:5], 3, v[5:6]
	v_sub_f32_e32 v8, v0, v7
	v_fma_f32 v38, v0, 2.0, -v8
	v_mov_b32_e32 v0, s11
	v_add_co_u32_e32 v4, vcc, s10, v4
	v_addc_co_u32_e32 v5, vcc, v0, v5, vcc
	v_lshlrev_b64 v[0:1], 3, v[1:2]
	v_add_u32_e32 v6, 0x220, v3
	v_add_co_u32_e32 v10, vcc, v4, v0
	v_mov_b32_e32 v31, v40
	v_addc_co_u32_e32 v40, vcc, v5, v1, vcc
	v_mad_u64_u32 v[4:5], s[2:3], s20, v6, 0
	v_lshlrev_b64 v[0:1], 3, v[30:31]
	v_fma_f32 v39, v54, 2.0, -v9
	v_mov_b32_e32 v2, v5
	v_mad_u64_u32 v[5:6], s[2:3], s21, v6, v[2:3]
	v_mad_u64_u32 v[6:7], s[2:3], s20, v23, 0
	v_add_co_u32_e32 v0, vcc, v10, v0
	v_addc_co_u32_e32 v1, vcc, v40, v1, vcc
	v_mov_b32_e32 v2, v7
	global_store_dwordx2 v[0:1], v[38:39], off
	v_lshlrev_b64 v[0:1], 3, v[4:5]
	v_mad_u64_u32 v[4:5], s[2:3], s21, v23, v[2:3]
	v_add_co_u32_e32 v0, vcc, v10, v0
	v_addc_co_u32_e32 v1, vcc, v40, v1, vcc
	v_mov_b32_e32 v7, v4
	global_store_dwordx2 v[0:1], v[8:9], off
	v_lshlrev_b64 v[0:1], 3, v[6:7]
	v_add_u32_e32 v6, 0x264, v3
	v_mad_u64_u32 v[4:5], s[2:3], s20, v6, 0
	v_add_co_u32_e32 v0, vcc, v10, v0
	v_mov_b32_e32 v2, v5
	v_mad_u64_u32 v[5:6], s[2:3], s21, v6, v[2:3]
	v_mad_u64_u32 v[6:7], s[2:3], s20, v25, 0
	v_fma_f32 v11, v11, 2.0, -v13
	v_addc_co_u32_e32 v1, vcc, v40, v1, vcc
	v_mov_b32_e32 v2, v7
	global_store_dwordx2 v[0:1], v[11:12], off
	v_lshlrev_b64 v[0:1], 3, v[4:5]
	v_mad_u64_u32 v[4:5], s[2:3], s21, v25, v[2:3]
	v_add_co_u32_e32 v0, vcc, v10, v0
	v_addc_co_u32_e32 v1, vcc, v40, v1, vcc
	v_mov_b32_e32 v7, v4
	global_store_dwordx2 v[0:1], v[13:14], off
	v_lshlrev_b64 v[0:1], 3, v[6:7]
	v_add_u32_e32 v6, 0x2a8, v3
	v_mad_u64_u32 v[4:5], s[2:3], s20, v6, 0
	v_add_co_u32_e32 v0, vcc, v10, v0
	v_mov_b32_e32 v2, v5
	v_mad_u64_u32 v[5:6], s[2:3], s21, v6, v[2:3]
	v_mad_u64_u32 v[6:7], s[2:3], s20, v24, 0
	v_addc_co_u32_e32 v1, vcc, v40, v1, vcc
	v_mov_b32_e32 v2, v7
	global_store_dwordx2 v[0:1], v[50:51], off
	v_lshlrev_b64 v[0:1], 3, v[4:5]
	v_mad_u64_u32 v[4:5], s[2:3], s21, v24, v[2:3]
	v_add_co_u32_e32 v0, vcc, v10, v0
	v_addc_co_u32_e32 v1, vcc, v40, v1, vcc
	v_mov_b32_e32 v7, v4
	global_store_dwordx2 v[0:1], v[48:49], off
	v_lshlrev_b64 v[0:1], 3, v[6:7]
	v_add_u32_e32 v6, 0x2ec, v3
	v_mad_u64_u32 v[4:5], s[2:3], s20, v6, 0
	v_add_u32_e32 v8, 0x110, v3
	v_add_co_u32_e32 v0, vcc, v10, v0
	v_mov_b32_e32 v2, v5
	v_mad_u64_u32 v[5:6], s[2:3], s21, v6, v[2:3]
	v_mad_u64_u32 v[6:7], s[2:3], s20, v8, 0
	v_fma_f32 v15, v15, 2.0, -v17
	v_addc_co_u32_e32 v1, vcc, v40, v1, vcc
	v_mov_b32_e32 v2, v7
	global_store_dwordx2 v[0:1], v[15:16], off
	v_lshlrev_b64 v[0:1], 3, v[4:5]
	v_mad_u64_u32 v[4:5], s[2:3], s21, v8, v[2:3]
	v_add_co_u32_e32 v0, vcc, v10, v0
	v_addc_co_u32_e32 v1, vcc, v40, v1, vcc
	v_mov_b32_e32 v7, v4
	global_store_dwordx2 v[0:1], v[17:18], off
	v_lshlrev_b64 v[0:1], 3, v[6:7]
	v_add_u32_e32 v6, 0x330, v3
	v_mad_u64_u32 v[4:5], s[2:3], s20, v6, 0
	v_add_u32_e32 v8, 0x154, v3
	v_add_co_u32_e32 v0, vcc, v10, v0
	v_mov_b32_e32 v2, v5
	v_mad_u64_u32 v[5:6], s[2:3], s21, v6, v[2:3]
	v_mad_u64_u32 v[6:7], s[2:3], s20, v8, 0
	v_addc_co_u32_e32 v1, vcc, v40, v1, vcc
	v_mov_b32_e32 v2, v7
	global_store_dwordx2 v[0:1], v[26:27], off
	v_lshlrev_b64 v[0:1], 3, v[4:5]
	v_mad_u64_u32 v[4:5], s[2:3], s21, v8, v[2:3]
	v_add_co_u32_e32 v0, vcc, v10, v0
	v_addc_co_u32_e32 v1, vcc, v40, v1, vcc
	v_mov_b32_e32 v7, v4
	global_store_dwordx2 v[0:1], v[34:35], off
	v_lshlrev_b64 v[0:1], 3, v[6:7]
	v_add_u32_e32 v6, 0x374, v3
	v_mad_u64_u32 v[4:5], s[2:3], s20, v6, 0
	v_add_u32_e32 v7, 0x198, v3
	v_mul_hi_u32 v8, v7, s1
	v_mov_b32_e32 v2, v5
	v_mad_u64_u32 v[5:6], s[2:3], s21, v6, v[2:3]
	v_lshrrev_b32_e32 v2, 9, v8
	v_mad_u32_u24 v8, v2, s0, v7
	v_mad_u64_u32 v[6:7], s[2:3], s20, v8, 0
	v_add_co_u32_e32 v0, vcc, v10, v0
	v_fma_f32 v19, v19, 2.0, -v32
	v_addc_co_u32_e32 v1, vcc, v40, v1, vcc
	v_mov_b32_e32 v2, v7
	global_store_dwordx2 v[0:1], v[19:20], off
	v_lshlrev_b64 v[0:1], 3, v[4:5]
	v_mad_u64_u32 v[4:5], s[2:3], s21, v8, v[2:3]
	v_add_co_u32_e32 v0, vcc, v10, v0
	v_addc_co_u32_e32 v1, vcc, v40, v1, vcc
	v_mov_b32_e32 v7, v4
	global_store_dwordx2 v[0:1], v[32:33], off
	v_lshlrev_b64 v[0:1], 3, v[6:7]
	v_add_u32_e32 v6, 0x220, v8
	v_mad_u64_u32 v[4:5], s[2:3], s20, v6, 0
	v_add_co_u32_e32 v0, vcc, v10, v0
	v_mov_b32_e32 v2, v5
	v_mad_u64_u32 v[5:6], s[2:3], s21, v6, v[2:3]
	v_add_u32_e32 v2, 0x1dc, v3
	v_mul_hi_u32 v3, v2, s1
	v_addc_co_u32_e32 v1, vcc, v40, v1, vcc
	global_store_dwordx2 v[0:1], v[46:47], off
	v_lshrrev_b32_e32 v3, 9, v3
	v_lshlrev_b64 v[0:1], 3, v[4:5]
	v_mad_u32_u24 v5, v3, s0, v2
	v_mad_u64_u32 v[2:3], s[0:1], s20, v5, 0
	v_add_u32_e32 v6, 0x220, v5
	v_add_co_u32_e32 v0, vcc, v10, v0
	v_mad_u64_u32 v[3:4], s[0:1], s21, v5, v[3:4]
	v_mad_u64_u32 v[4:5], s[0:1], s20, v6, 0
	v_addc_co_u32_e32 v1, vcc, v40, v1, vcc
	global_store_dwordx2 v[0:1], v[28:29], off
	v_lshlrev_b64 v[0:1], 3, v[2:3]
	v_mov_b32_e32 v2, v5
	v_mad_u64_u32 v[2:3], s[0:1], s21, v6, v[2:3]
	v_add_co_u32_e32 v0, vcc, v10, v0
	v_addc_co_u32_e32 v1, vcc, v40, v1, vcc
	v_mov_b32_e32 v5, v2
	global_store_dwordx2 v[0:1], v[36:37], off
	v_lshlrev_b64 v[0:1], 3, v[4:5]
	v_add_co_u32_e32 v0, vcc, v10, v0
	v_addc_co_u32_e32 v1, vcc, v40, v1, vcc
	global_store_dwordx2 v[0:1], v[21:22], off
.LBB0_16:
	s_endpgm
	.section	.rodata,"a",@progbits
	.p2align	6, 0x0
	.amdhsa_kernel fft_rtc_back_len1088_factors_17_4_4_2_2_wgs_204_tpt_68_halfLds_sp_op_CI_CI_sbrr_dirReg
		.amdhsa_group_segment_fixed_size 0
		.amdhsa_private_segment_fixed_size 0
		.amdhsa_kernarg_size 104
		.amdhsa_user_sgpr_count 6
		.amdhsa_user_sgpr_private_segment_buffer 1
		.amdhsa_user_sgpr_dispatch_ptr 0
		.amdhsa_user_sgpr_queue_ptr 0
		.amdhsa_user_sgpr_kernarg_segment_ptr 1
		.amdhsa_user_sgpr_dispatch_id 0
		.amdhsa_user_sgpr_flat_scratch_init 0
		.amdhsa_user_sgpr_private_segment_size 0
		.amdhsa_uses_dynamic_stack 0
		.amdhsa_system_sgpr_private_segment_wavefront_offset 0
		.amdhsa_system_sgpr_workgroup_id_x 1
		.amdhsa_system_sgpr_workgroup_id_y 0
		.amdhsa_system_sgpr_workgroup_id_z 0
		.amdhsa_system_sgpr_workgroup_info 0
		.amdhsa_system_vgpr_workitem_id 0
		.amdhsa_next_free_vgpr 81
		.amdhsa_next_free_sgpr 32
		.amdhsa_reserve_vcc 1
		.amdhsa_reserve_flat_scratch 0
		.amdhsa_float_round_mode_32 0
		.amdhsa_float_round_mode_16_64 0
		.amdhsa_float_denorm_mode_32 3
		.amdhsa_float_denorm_mode_16_64 3
		.amdhsa_dx10_clamp 1
		.amdhsa_ieee_mode 1
		.amdhsa_fp16_overflow 0
		.amdhsa_exception_fp_ieee_invalid_op 0
		.amdhsa_exception_fp_denorm_src 0
		.amdhsa_exception_fp_ieee_div_zero 0
		.amdhsa_exception_fp_ieee_overflow 0
		.amdhsa_exception_fp_ieee_underflow 0
		.amdhsa_exception_fp_ieee_inexact 0
		.amdhsa_exception_int_div_zero 0
	.end_amdhsa_kernel
	.text
.Lfunc_end0:
	.size	fft_rtc_back_len1088_factors_17_4_4_2_2_wgs_204_tpt_68_halfLds_sp_op_CI_CI_sbrr_dirReg, .Lfunc_end0-fft_rtc_back_len1088_factors_17_4_4_2_2_wgs_204_tpt_68_halfLds_sp_op_CI_CI_sbrr_dirReg
                                        ; -- End function
	.section	.AMDGPU.csdata,"",@progbits
; Kernel info:
; codeLenInByte = 12192
; NumSgprs: 36
; NumVgprs: 81
; ScratchSize: 0
; MemoryBound: 0
; FloatMode: 240
; IeeeMode: 1
; LDSByteSize: 0 bytes/workgroup (compile time only)
; SGPRBlocks: 4
; VGPRBlocks: 20
; NumSGPRsForWavesPerEU: 36
; NumVGPRsForWavesPerEU: 81
; Occupancy: 3
; WaveLimiterHint : 1
; COMPUTE_PGM_RSRC2:SCRATCH_EN: 0
; COMPUTE_PGM_RSRC2:USER_SGPR: 6
; COMPUTE_PGM_RSRC2:TRAP_HANDLER: 0
; COMPUTE_PGM_RSRC2:TGID_X_EN: 1
; COMPUTE_PGM_RSRC2:TGID_Y_EN: 0
; COMPUTE_PGM_RSRC2:TGID_Z_EN: 0
; COMPUTE_PGM_RSRC2:TIDIG_COMP_CNT: 0
	.type	__hip_cuid_4bf648039dd9546,@object ; @__hip_cuid_4bf648039dd9546
	.section	.bss,"aw",@nobits
	.globl	__hip_cuid_4bf648039dd9546
__hip_cuid_4bf648039dd9546:
	.byte	0                               ; 0x0
	.size	__hip_cuid_4bf648039dd9546, 1

	.ident	"AMD clang version 19.0.0git (https://github.com/RadeonOpenCompute/llvm-project roc-6.4.0 25133 c7fe45cf4b819c5991fe208aaa96edf142730f1d)"
	.section	".note.GNU-stack","",@progbits
	.addrsig
	.addrsig_sym __hip_cuid_4bf648039dd9546
	.amdgpu_metadata
---
amdhsa.kernels:
  - .args:
      - .actual_access:  read_only
        .address_space:  global
        .offset:         0
        .size:           8
        .value_kind:     global_buffer
      - .offset:         8
        .size:           8
        .value_kind:     by_value
      - .actual_access:  read_only
        .address_space:  global
        .offset:         16
        .size:           8
        .value_kind:     global_buffer
      - .actual_access:  read_only
        .address_space:  global
        .offset:         24
        .size:           8
        .value_kind:     global_buffer
      - .actual_access:  read_only
        .address_space:  global
        .offset:         32
        .size:           8
        .value_kind:     global_buffer
      - .offset:         40
        .size:           8
        .value_kind:     by_value
      - .actual_access:  read_only
        .address_space:  global
        .offset:         48
        .size:           8
        .value_kind:     global_buffer
      - .actual_access:  read_only
        .address_space:  global
        .offset:         56
        .size:           8
        .value_kind:     global_buffer
      - .offset:         64
        .size:           4
        .value_kind:     by_value
      - .actual_access:  read_only
        .address_space:  global
        .offset:         72
        .size:           8
        .value_kind:     global_buffer
      - .actual_access:  read_only
        .address_space:  global
        .offset:         80
        .size:           8
        .value_kind:     global_buffer
      - .actual_access:  read_only
        .address_space:  global
        .offset:         88
        .size:           8
        .value_kind:     global_buffer
      - .actual_access:  write_only
        .address_space:  global
        .offset:         96
        .size:           8
        .value_kind:     global_buffer
    .group_segment_fixed_size: 0
    .kernarg_segment_align: 8
    .kernarg_segment_size: 104
    .language:       OpenCL C
    .language_version:
      - 2
      - 0
    .max_flat_workgroup_size: 204
    .name:           fft_rtc_back_len1088_factors_17_4_4_2_2_wgs_204_tpt_68_halfLds_sp_op_CI_CI_sbrr_dirReg
    .private_segment_fixed_size: 0
    .sgpr_count:     36
    .sgpr_spill_count: 0
    .symbol:         fft_rtc_back_len1088_factors_17_4_4_2_2_wgs_204_tpt_68_halfLds_sp_op_CI_CI_sbrr_dirReg.kd
    .uniform_work_group_size: 1
    .uses_dynamic_stack: false
    .vgpr_count:     81
    .vgpr_spill_count: 0
    .wavefront_size: 64
amdhsa.target:   amdgcn-amd-amdhsa--gfx906
amdhsa.version:
  - 1
  - 2
...

	.end_amdgpu_metadata
